;; amdgpu-corpus repo=ROCm/rocFFT kind=compiled arch=gfx906 opt=O3
	.text
	.amdgcn_target "amdgcn-amd-amdhsa--gfx906"
	.amdhsa_code_object_version 6
	.protected	bluestein_single_back_len245_dim1_sp_op_CI_CI ; -- Begin function bluestein_single_back_len245_dim1_sp_op_CI_CI
	.globl	bluestein_single_back_len245_dim1_sp_op_CI_CI
	.p2align	8
	.type	bluestein_single_back_len245_dim1_sp_op_CI_CI,@function
bluestein_single_back_len245_dim1_sp_op_CI_CI: ; @bluestein_single_back_len245_dim1_sp_op_CI_CI
; %bb.0:
	v_mul_u32_u24_e32 v1, 0x751, v0
	s_load_dwordx4 s[12:15], s[4:5], 0x28
	v_lshrrev_b32_e32 v1, 16, v1
	v_mad_u64_u32 v[46:47], s[0:1], s6, 7, v[1:2]
	v_mov_b32_e32 v47, 0
	s_waitcnt lgkmcnt(0)
	v_cmp_gt_u64_e32 vcc, s[12:13], v[46:47]
	s_and_saveexec_b64 s[0:1], vcc
	s_cbranch_execz .LBB0_10
; %bb.1:
	s_load_dwordx4 s[0:3], s[4:5], 0x18
	s_load_dwordx4 s[8:11], s[4:5], 0x0
	v_mul_lo_u16_e32 v1, 35, v1
	v_sub_u16_e32 v64, v0, v1
	v_lshlrev_b32_e32 v40, 3, v64
	s_waitcnt lgkmcnt(0)
	s_load_dwordx4 s[16:19], s[0:1], 0x0
	global_load_dwordx2 v[55:56], v40, s[8:9]
	s_mov_b32 s7, 0x3f3bfb3b
	s_mov_b32 s6, 0x3f5ff5aa
	s_load_dwordx2 s[4:5], s[4:5], 0x38
	s_waitcnt lgkmcnt(0)
	v_mad_u64_u32 v[0:1], s[0:1], s18, v46, 0
	v_mad_u64_u32 v[2:3], s[0:1], s16, v64, 0
                                        ; implicit-def: $vgpr28
                                        ; implicit-def: $vgpr38
	v_mad_u64_u32 v[4:5], s[0:1], s19, v46, v[1:2]
	v_mad_u64_u32 v[5:6], s[0:1], s17, v64, v[3:4]
	v_mov_b32_e32 v1, v4
	v_lshlrev_b64 v[0:1], 3, v[0:1]
	v_mov_b32_e32 v6, s15
	v_mov_b32_e32 v3, v5
	v_add_co_u32_e32 v4, vcc, s14, v0
	v_addc_co_u32_e32 v5, vcc, v6, v1, vcc
	v_lshlrev_b64 v[0:1], 3, v[2:3]
	s_mul_i32 s0, s17, 0x118
	v_add_co_u32_e32 v0, vcc, v4, v0
	s_mul_hi_u32 s1, s16, 0x118
	v_addc_co_u32_e32 v1, vcc, v5, v1, vcc
	s_add_i32 s0, s1, s0
	s_mul_i32 s1, s16, 0x118
	global_load_dwordx2 v[2:3], v[0:1], off
	v_mov_b32_e32 v4, s0
	v_add_co_u32_e32 v0, vcc, s1, v0
	v_addc_co_u32_e32 v1, vcc, v1, v4, vcc
	v_mov_b32_e32 v5, s0
	v_add_co_u32_e32 v4, vcc, s1, v0
	v_addc_co_u32_e32 v5, vcc, v1, v5, vcc
	global_load_dwordx2 v[6:7], v[0:1], off
	global_load_dwordx2 v[8:9], v[4:5], off
	v_mov_b32_e32 v1, s0
	v_add_co_u32_e32 v0, vcc, s1, v4
	v_addc_co_u32_e32 v1, vcc, v5, v1, vcc
	v_mov_b32_e32 v5, s0
	v_add_co_u32_e32 v4, vcc, s1, v0
	v_addc_co_u32_e32 v5, vcc, v1, v5, vcc
	global_load_dwordx2 v[57:58], v40, s[8:9] offset:280
	global_load_dwordx2 v[53:54], v40, s[8:9] offset:560
	;; [unrolled: 1-line block ×3, first 2 shown]
	global_load_dwordx2 v[10:11], v[0:1], off
	global_load_dwordx2 v[12:13], v[4:5], off
	global_load_dwordx2 v[49:50], v40, s[8:9] offset:1120
	v_mov_b32_e32 v1, s0
	v_add_co_u32_e32 v0, vcc, s1, v4
	v_addc_co_u32_e32 v1, vcc, v5, v1, vcc
	global_load_dwordx2 v[4:5], v[0:1], off
	global_load_dwordx2 v[47:48], v40, s[8:9] offset:1400
	v_mov_b32_e32 v14, s0
	v_add_co_u32_e32 v0, vcc, s1, v0
	v_addc_co_u32_e32 v1, vcc, v1, v14, vcc
	global_load_dwordx2 v[44:45], v40, s[8:9] offset:1680
	global_load_dwordx2 v[14:15], v[0:1], off
	s_mov_b32 s0, 0x24924925
	v_mul_hi_u32 v0, v46, s0
	s_load_dwordx4 s[0:3], s[2:3], 0x0
	v_add_co_u32_e32 v32, vcc, s8, v40
	v_sub_u32_e32 v1, v46, v0
	v_lshrrev_b32_e32 v1, 1, v1
	v_add_u32_e32 v0, v1, v0
	v_lshrrev_b32_e32 v0, 2, v0
	v_mul_lo_u32 v0, v0, 7
	v_sub_u32_e32 v0, v46, v0
	v_mul_u32_u24_e32 v0, 0xf5, v0
	v_lshlrev_b32_e32 v65, 3, v0
	v_add_u32_e32 v63, v40, v65
	s_waitcnt vmcnt(12)
	v_mul_f32_e32 v0, v3, v56
	v_mul_f32_e32 v1, v2, v56
	v_fmac_f32_e32 v0, v2, v55
	v_fma_f32 v1, v3, v55, -v1
	s_waitcnt vmcnt(9)
	v_mul_f32_e32 v2, v7, v58
	v_mul_f32_e32 v3, v6, v58
	v_fmac_f32_e32 v2, v6, v57
	v_fma_f32 v3, v7, v57, -v3
	s_waitcnt vmcnt(8)
	v_mul_f32_e32 v6, v9, v54
	v_mul_f32_e32 v7, v8, v54
	ds_write2_b64 v63, v[0:1], v[2:3] offset1:35
	s_waitcnt vmcnt(6)
	v_mul_f32_e32 v0, v11, v52
	v_mul_f32_e32 v1, v10, v52
	v_fmac_f32_e32 v6, v8, v53
	v_fma_f32 v7, v9, v53, -v7
	v_fmac_f32_e32 v0, v10, v51
	v_fma_f32 v1, v11, v51, -v1
	s_waitcnt vmcnt(4)
	v_mul_f32_e32 v2, v13, v50
	v_mul_f32_e32 v3, v12, v50
	ds_write2_b64 v63, v[6:7], v[0:1] offset0:70 offset1:105
	s_waitcnt vmcnt(2)
	v_mul_f32_e32 v0, v5, v48
	v_mul_f32_e32 v1, v4, v48
	v_fmac_f32_e32 v2, v12, v49
	v_fma_f32 v3, v13, v49, -v3
	v_fmac_f32_e32 v0, v4, v47
	v_fma_f32 v1, v5, v47, -v1
	ds_write2_b64 v63, v[2:3], v[0:1] offset0:140 offset1:175
	s_waitcnt vmcnt(0)
	v_mul_f32_e32 v0, v15, v45
	v_mul_f32_e32 v1, v14, v45
	v_fmac_f32_e32 v0, v14, v44
	v_fma_f32 v1, v15, v44, -v1
	ds_write_b64 v63, v[0:1] offset:1680
	s_waitcnt lgkmcnt(0)
	s_barrier
	ds_read2_b64 v[0:3], v63 offset1:35
	ds_read_b64 v[12:13], v63 offset:1680
	ds_read2_b64 v[4:7], v63 offset0:70 offset1:105
	ds_read2_b64 v[8:11], v63 offset0:140 offset1:175
	s_waitcnt lgkmcnt(0)
	s_barrier
	v_add_f32_e32 v15, v2, v12
	v_sub_f32_e32 v2, v2, v12
	v_add_f32_e32 v12, v4, v10
	v_add_f32_e32 v16, v3, v13
	v_sub_f32_e32 v3, v3, v13
	v_add_f32_e32 v13, v5, v11
	v_sub_f32_e32 v4, v4, v10
	;; [unrolled: 2-line block ×5, first 2 shown]
	v_add_f32_e32 v9, v13, v16
	v_add_f32_e32 v8, v10, v8
	;; [unrolled: 1-line block ×4, first 2 shown]
	v_sub_f32_e32 v17, v12, v15
	v_sub_f32_e32 v18, v13, v16
	;; [unrolled: 1-line block ×6, first 2 shown]
	v_add_f32_e32 v1, v1, v9
	v_mov_b32_e32 v23, v0
	v_add_f32_e32 v19, v6, v4
	v_add_f32_e32 v20, v7, v5
	v_sub_f32_e32 v21, v6, v4
	v_sub_f32_e32 v22, v7, v5
	v_mul_f32_e32 v10, 0x3f4a47b2, v15
	v_mul_f32_e32 v11, 0x3f4a47b2, v16
	;; [unrolled: 1-line block ×4, first 2 shown]
	v_fmac_f32_e32 v23, 0xbf955555, v8
	v_mov_b32_e32 v8, v1
	v_sub_f32_e32 v6, v2, v6
	v_sub_f32_e32 v7, v3, v7
	;; [unrolled: 1-line block ×4, first 2 shown]
	v_add_f32_e32 v2, v19, v2
	v_add_f32_e32 v3, v20, v3
	v_mul_f32_e32 v19, 0xbf08b237, v21
	v_mul_f32_e32 v20, 0xbf08b237, v22
	v_fmac_f32_e32 v8, 0xbf955555, v9
	v_fma_f32 v9, v17, s7, -v15
	v_fma_f32 v15, v18, s7, -v16
	s_mov_b32 s7, 0xbf3bfb3b
	v_mul_f32_e32 v21, 0x3f5ff5aa, v4
	v_fma_f32 v16, v17, s7, -v10
	v_fmac_f32_e32 v10, 0x3d64c772, v12
	v_fma_f32 v12, v18, s7, -v11
	v_fmac_f32_e32 v11, 0x3d64c772, v13
	v_fma_f32 v13, v4, s6, -v19
	v_fma_f32 v17, v5, s6, -v20
	v_fmac_f32_e32 v20, 0x3eae86e6, v7
	s_mov_b32 s6, 0xbeae86e6
	v_mul_f32_e32 v22, 0x3f5ff5aa, v5
	v_fmac_f32_e32 v19, 0x3eae86e6, v6
	v_fma_f32 v18, v6, s6, -v21
	v_add_f32_e32 v10, v10, v23
	v_fmac_f32_e32 v20, 0x3ee1c552, v3
	v_fma_f32 v21, v7, s6, -v22
	v_add_f32_e32 v11, v11, v8
	v_fmac_f32_e32 v19, 0x3ee1c552, v2
	v_fmac_f32_e32 v13, 0x3ee1c552, v2
	;; [unrolled: 1-line block ×3, first 2 shown]
	v_add_f32_e32 v2, v10, v20
	v_sub_f32_e32 v22, v10, v20
	v_mul_lo_u16_e32 v10, 7, v64
	v_add_f32_e32 v9, v9, v23
	v_add_f32_e32 v15, v15, v8
	;; [unrolled: 1-line block ×4, first 2 shown]
	v_fmac_f32_e32 v17, 0x3ee1c552, v3
	v_fmac_f32_e32 v21, 0x3ee1c552, v3
	v_sub_f32_e32 v3, v11, v19
	v_lshl_add_u32 v41, v10, 3, v65
	v_add_f32_e32 v4, v21, v16
	v_sub_f32_e32 v5, v12, v18
	v_sub_f32_e32 v6, v9, v17
	v_add_f32_e32 v7, v13, v15
	v_add_f32_e32 v8, v17, v9
	v_sub_f32_e32 v9, v15, v13
	v_sub_f32_e32 v34, v16, v21
	v_add_f32_e32 v35, v18, v12
	v_add_f32_e32 v23, v19, v11
	ds_write2_b64 v41, v[0:1], v[2:3] offset1:1
	ds_write2_b64 v41, v[4:5], v[6:7] offset0:2 offset1:3
	ds_write2_b64 v41, v[8:9], v[34:35] offset0:4 offset1:5
	ds_write_b64 v41, v[22:23] offset:48
	s_waitcnt lgkmcnt(0)
	s_barrier
	ds_read2_b64 v[16:19], v63 offset1:49
	ds_read2_b64 v[24:27], v63 offset0:98 offset1:147
	ds_read_b64 v[36:37], v63 offset:1568
	v_mov_b32_e32 v14, s9
	v_addc_co_u32_e32 v33, vcc, 0, v14, vcc
	v_cmp_gt_u16_e32 vcc, 14, v64
	s_and_saveexec_b64 s[6:7], vcc
	s_cbranch_execz .LBB0_3
; %bb.2:
	ds_read2_b64 v[20:23], v63 offset0:35 offset1:84
	ds_read2_b64 v[28:31], v63 offset0:133 offset1:182
	ds_read_b64 v[38:39], v63 offset:1848
	s_waitcnt lgkmcnt(2)
	v_mov_b32_e32 v34, v20
	v_mov_b32_e32 v35, v21
.LBB0_3:
	s_or_b64 exec, exec, s[6:7]
	v_mov_b32_e32 v0, 37
	v_mul_lo_u16_sdwa v1, v64, v0 dst_sel:DWORD dst_unused:UNUSED_PAD src0_sel:BYTE_0 src1_sel:DWORD
	v_sub_u16_sdwa v2, v64, v1 dst_sel:DWORD dst_unused:UNUSED_PAD src0_sel:DWORD src1_sel:BYTE_1
	v_lshrrev_b16_e32 v2, 1, v2
	v_and_b32_e32 v2, 0x7f, v2
	v_add_u16_sdwa v1, v2, v1 dst_sel:DWORD dst_unused:UNUSED_PAD src0_sel:DWORD src1_sel:BYTE_1
	v_lshrrev_b16_e32 v21, 2, v1
	v_mul_lo_u16_e32 v1, 7, v21
	v_sub_u16_e32 v60, v64, v1
	v_mov_b32_e32 v1, 5
	v_lshlrev_b32_sdwa v2, v1, v60 dst_sel:DWORD dst_unused:UNUSED_PAD src0_sel:DWORD src1_sel:BYTE_0
	global_load_dwordx4 v[8:11], v2, s[10:11] offset:16
	global_load_dwordx4 v[12:15], v2, s[10:11]
	v_add_u16_e32 v2, 35, v64
	v_mul_lo_u16_sdwa v0, v2, v0 dst_sel:DWORD dst_unused:UNUSED_PAD src0_sel:BYTE_0 src1_sel:DWORD
	v_sub_u16_sdwa v3, v2, v0 dst_sel:DWORD dst_unused:UNUSED_PAD src0_sel:DWORD src1_sel:BYTE_1
	v_lshrrev_b16_e32 v3, 1, v3
	v_and_b32_e32 v3, 0x7f, v3
	v_add_u16_sdwa v0, v3, v0 dst_sel:DWORD dst_unused:UNUSED_PAD src0_sel:DWORD src1_sel:BYTE_1
	v_lshrrev_b16_e32 v66, 2, v0
	v_mul_lo_u16_e32 v0, 7, v66
	v_sub_u16_e32 v67, v2, v0
	v_lshlrev_b32_sdwa v20, v1, v67 dst_sel:DWORD dst_unused:UNUSED_PAD src0_sel:DWORD src1_sel:BYTE_0
	global_load_dwordx4 v[4:7], v20, s[10:11]
	global_load_dwordx4 v[0:3], v20, s[10:11] offset:16
	v_mul_u32_u24_e32 v21, 35, v21
	v_add_u32_sdwa v21, v21, v60 dst_sel:DWORD dst_unused:UNUSED_PAD src0_sel:DWORD src1_sel:BYTE_0
	s_waitcnt vmcnt(0) lgkmcnt(0)
	s_barrier
	v_mul_f32_e32 v69, v27, v9
	v_mul_f32_e32 v20, v19, v13
	;; [unrolled: 1-line block ×6, first 2 shown]
	v_fma_f32 v20, v18, v12, -v20
	v_mul_f32_e32 v75, v36, v11
	v_fma_f32 v68, v24, v14, -v68
	v_fmac_f32_e32 v73, v25, v14
	v_fma_f32 v26, v26, v8, -v69
	v_mul_f32_e32 v71, v23, v5
	v_mul_f32_e32 v42, v22, v5
	;; [unrolled: 1-line block ×4, first 2 shown]
	v_fmac_f32_e32 v74, v27, v8
	v_fma_f32 v24, v22, v4, -v71
	v_fmac_f32_e32 v42, v23, v4
	v_fma_f32 v22, v36, v10, -v70
	v_add_f32_e32 v23, v16, v20
	v_mul_f32_e32 v59, v18, v13
	v_mul_f32_e32 v76, v31, v1
	;; [unrolled: 1-line block ×3, first 2 shown]
	v_fmac_f32_e32 v75, v37, v10
	v_fmac_f32_e32 v61, v31, v0
	v_fma_f32 v25, v38, v2, -v77
	v_add_f32_e32 v27, v68, v26
	v_add_f32_e32 v31, v20, v22
	v_sub_f32_e32 v36, v68, v20
	v_sub_f32_e32 v37, v26, v22
	v_add_f32_e32 v38, v73, v74
	v_add_f32_e32 v23, v23, v68
	v_fmac_f32_e32 v59, v19, v12
	v_add_f32_e32 v78, v36, v37
	v_fma_f32 v36, -0.5, v27, v16
	v_fma_f32 v37, -0.5, v38, v17
	v_fma_f32 v38, -0.5, v31, v16
	v_add_f32_e32 v16, v23, v26
	v_mul_f32_e32 v43, v28, v7
	v_fmac_f32_e32 v62, v39, v2
	v_sub_f32_e32 v39, v59, v73
	v_sub_f32_e32 v69, v75, v74
	v_add_f32_e32 v71, v16, v22
	v_add_f32_e32 v16, v59, v75
	v_mul_f32_e32 v72, v29, v7
	v_fmac_f32_e32 v43, v29, v6
	v_fma_f32 v19, v30, v0, -v76
	v_sub_f32_e32 v29, v20, v68
	v_sub_f32_e32 v30, v22, v26
	v_add_f32_e32 v70, v17, v59
	v_add_f32_e32 v27, v39, v69
	v_fma_f32 v39, -0.5, v16, v17
	v_sub_f32_e32 v20, v20, v22
	v_sub_f32_e32 v76, v68, v26
	v_add_f32_e32 v29, v29, v30
	v_add_f32_e32 v30, v70, v73
	v_mov_b32_e32 v31, v37
	v_mov_b32_e32 v70, v39
	v_fma_f32 v18, v28, v6, -v72
	v_fmac_f32_e32 v31, 0xbf737871, v20
	v_fmac_f32_e32 v37, 0x3f737871, v20
	;; [unrolled: 1-line block ×4, first 2 shown]
	v_add_f32_e32 v23, v30, v74
	v_fmac_f32_e32 v31, 0xbf167918, v76
	v_fmac_f32_e32 v37, 0x3f167918, v76
	;; [unrolled: 1-line block ×4, first 2 shown]
	v_sub_f32_e32 v20, v24, v18
	v_sub_f32_e32 v22, v25, v19
	v_add_f32_e32 v72, v23, v75
	v_fmac_f32_e32 v31, 0x3e9e377a, v27
	v_fmac_f32_e32 v37, 0x3e9e377a, v27
	v_add_f32_e32 v27, v20, v22
	v_add_f32_e32 v20, v24, v25
	v_sub_f32_e32 v22, v18, v24
	v_sub_f32_e32 v23, v19, v25
	v_add_f32_e32 v23, v22, v23
	v_fma_f32 v22, -0.5, v20, v34
	v_sub_f32_e32 v16, v73, v59
	v_sub_f32_e32 v17, v74, v75
	v_sub_f32_e32 v26, v43, v61
	v_mov_b32_e32 v20, v22
	v_sub_f32_e32 v28, v59, v75
	v_mov_b32_e32 v30, v36
	v_add_f32_e32 v16, v16, v17
	v_sub_f32_e32 v17, v42, v62
	v_fmac_f32_e32 v20, 0xbf737871, v26
	v_fmac_f32_e32 v22, 0x3f737871, v26
	v_sub_f32_e32 v77, v73, v74
	v_mov_b32_e32 v69, v38
	v_fmac_f32_e32 v30, 0x3f737871, v28
	v_fmac_f32_e32 v20, 0x3f167918, v17
	;; [unrolled: 1-line block ×8, first 2 shown]
	v_add_f32_e32 v23, v43, v61
	v_fmac_f32_e32 v36, 0xbf737871, v28
	v_fmac_f32_e32 v38, 0xbf167918, v28
	;; [unrolled: 1-line block ×4, first 2 shown]
	v_fma_f32 v28, -0.5, v23, v35
	v_lshl_add_u32 v68, v21, 3, v65
	v_sub_f32_e32 v21, v42, v43
	v_sub_f32_e32 v23, v62, v61
	v_fmac_f32_e32 v70, 0x3e9e377a, v16
	v_fmac_f32_e32 v39, 0x3e9e377a, v16
	v_add_f32_e32 v16, v18, v19
	ds_write2_b64 v68, v[71:72], v[30:31] offset1:7
	v_add_f32_e32 v31, v21, v23
	v_add_f32_e32 v21, v42, v62
	v_fmac_f32_e32 v36, 0xbf167918, v77
	v_fma_f32 v16, -0.5, v16, v34
	v_fma_f32 v23, -0.5, v21, v35
	v_fmac_f32_e32 v36, 0x3e9e377a, v29
	v_mov_b32_e32 v59, v16
	v_sub_f32_e32 v29, v24, v25
	v_sub_f32_e32 v30, v18, v19
	v_mov_b32_e32 v60, v28
	v_mov_b32_e32 v21, v23
	v_fmac_f32_e32 v59, 0xbf737871, v17
	v_fmac_f32_e32 v60, 0x3f737871, v29
	;; [unrolled: 1-line block ×3, first 2 shown]
	v_sub_f32_e32 v71, v43, v42
	v_sub_f32_e32 v72, v61, v62
	v_fmac_f32_e32 v23, 0xbf737871, v30
	v_fmac_f32_e32 v59, 0xbf167918, v26
	;; [unrolled: 1-line block ×4, first 2 shown]
	v_add_f32_e32 v71, v71, v72
	v_fmac_f32_e32 v23, 0x3f167918, v29
	v_fmac_f32_e32 v38, 0x3e9e377a, v78
	;; [unrolled: 1-line block ×7, first 2 shown]
	ds_write2_b64 v68, v[69:70], v[38:39] offset0:14 offset1:21
	ds_write_b64 v68, v[36:37] offset:224
	s_and_saveexec_b64 s[6:7], vcc
	s_cbranch_execz .LBB0_5
; %bb.4:
	v_mul_f32_e32 v36, 0x3f737871, v17
	v_mul_f32_e32 v17, 0x3f737871, v29
	v_add_f32_e32 v24, v34, v24
	v_mul_f32_e32 v37, 0x3f167918, v26
	v_mul_f32_e32 v26, 0x3f167918, v30
	v_sub_f32_e32 v17, v28, v17
	v_add_f32_e32 v18, v24, v18
	v_sub_f32_e32 v17, v17, v26
	v_add_f32_e32 v26, v35, v42
	v_add_f32_e32 v18, v18, v19
	;; [unrolled: 1-line block ×5, first 2 shown]
	v_mul_u32_u24_e32 v18, 35, v66
	v_mul_f32_e32 v27, 0x3e9e377a, v27
	v_mul_f32_e32 v29, 0x3e9e377a, v31
	v_add_f32_e32 v26, v26, v61
	v_add_f32_e32 v16, v37, v16
	v_add_u32_sdwa v18, v18, v67 dst_sel:DWORD dst_unused:UNUSED_PAD src0_sel:DWORD src1_sel:BYTE_0
	v_add_f32_e32 v17, v29, v17
	v_add_f32_e32 v26, v26, v62
	;; [unrolled: 1-line block ×3, first 2 shown]
	v_lshl_add_u32 v18, v18, 3, v65
	ds_write2_b64 v18, v[25:26], v[16:17] offset1:7
	ds_write2_b64 v18, v[20:21], v[22:23] offset0:14 offset1:21
	ds_write_b64 v18, v[59:60] offset:224
.LBB0_5:
	s_or_b64 exec, exec, s[6:7]
	s_add_u32 s6, s8, 0x7a8
	s_addc_u32 s7, s9, 0
	v_mad_u64_u32 v[42:43], s[8:9], v64, 48, s[10:11]
	s_waitcnt lgkmcnt(0)
	s_barrier
	ds_read2_b64 v[34:37], v63 offset1:35
	ds_read2_b64 v[69:72], v63 offset0:70 offset1:105
	ds_read2_b64 v[73:76], v63 offset0:140 offset1:175
	ds_read_b64 v[38:39], v63 offset:1680
	global_load_dwordx4 v[16:19], v[42:43], off offset:256
	global_load_dwordx4 v[24:27], v[42:43], off offset:240
	;; [unrolled: 1-line block ×3, first 2 shown]
	s_mov_b32 s9, 0x3f3bfb3b
	s_mov_b32 s10, 0xbf3bfb3b
	;; [unrolled: 1-line block ×4, first 2 shown]
	s_waitcnt vmcnt(1) lgkmcnt(2)
	v_mul_f32_e32 v61, v72, v25
	s_waitcnt vmcnt(0)
	v_mul_f32_e32 v42, v37, v29
	v_fma_f32 v42, v36, v28, -v42
	v_mul_f32_e32 v36, v36, v29
	v_fmac_f32_e32 v36, v37, v28
	v_mul_f32_e32 v37, v70, v31
	v_fma_f32 v37, v69, v30, -v37
	v_mul_f32_e32 v43, v69, v31
	s_waitcnt lgkmcnt(1)
	v_mul_f32_e32 v69, v74, v27
	v_fmac_f32_e32 v43, v70, v30
	v_fma_f32 v69, v73, v26, -v69
	v_mul_f32_e32 v70, v73, v27
	s_waitcnt lgkmcnt(0)
	v_mul_f32_e32 v73, v39, v19
	v_fma_f32 v61, v71, v24, -v61
	v_mul_f32_e32 v62, v71, v25
	v_mul_f32_e32 v71, v76, v17
	v_fma_f32 v73, v38, v18, -v73
	v_mul_f32_e32 v38, v38, v19
	v_fmac_f32_e32 v62, v72, v24
	v_fma_f32 v71, v75, v16, -v71
	v_mul_f32_e32 v72, v75, v17
	v_fmac_f32_e32 v38, v39, v18
	v_fmac_f32_e32 v70, v74, v26
	;; [unrolled: 1-line block ×3, first 2 shown]
	v_add_f32_e32 v39, v42, v73
	v_add_f32_e32 v74, v36, v38
	v_sub_f32_e32 v36, v36, v38
	v_add_f32_e32 v38, v37, v71
	v_sub_f32_e32 v42, v42, v73
	;; [unrolled: 2-line block ×6, first 2 shown]
	v_add_f32_e32 v70, v73, v74
	v_add_f32_e32 v69, v71, v69
	;; [unrolled: 1-line block ×4, first 2 shown]
	v_sub_f32_e32 v75, v38, v39
	v_sub_f32_e32 v76, v73, v74
	;; [unrolled: 1-line block ×6, first 2 shown]
	v_add_f32_e32 v77, v61, v37
	v_add_f32_e32 v78, v62, v43
	v_sub_f32_e32 v79, v61, v37
	v_sub_f32_e32 v80, v62, v43
	v_add_f32_e32 v35, v35, v70
	v_mov_b32_e32 v81, v34
	v_sub_f32_e32 v61, v42, v61
	v_sub_f32_e32 v62, v36, v62
	;; [unrolled: 1-line block ×4, first 2 shown]
	v_add_f32_e32 v42, v77, v42
	v_add_f32_e32 v36, v78, v36
	v_mul_f32_e32 v39, 0x3f4a47b2, v39
	v_mul_f32_e32 v71, 0x3f4a47b2, v74
	;; [unrolled: 1-line block ×6, first 2 shown]
	v_fmac_f32_e32 v81, 0xbf955555, v69
	v_mov_b32_e32 v69, v35
	v_mul_f32_e32 v79, 0xbf5ff5aa, v37
	v_mul_f32_e32 v80, 0xbf5ff5aa, v43
	v_fmac_f32_e32 v69, 0xbf955555, v70
	v_fma_f32 v70, v75, s9, -v72
	v_fma_f32 v72, v76, s9, -v74
	;; [unrolled: 1-line block ×3, first 2 shown]
	v_fmac_f32_e32 v39, 0x3d64c772, v38
	v_fma_f32 v38, v76, s10, -v71
	v_fmac_f32_e32 v71, 0x3d64c772, v73
	v_fma_f32 v73, v37, s11, -v77
	;; [unrolled: 2-line block ×3, first 2 shown]
	v_fmac_f32_e32 v78, 0x3eae86e6, v62
	v_fmac_f32_e32 v79, 0xbeae86e6, v61
	;; [unrolled: 1-line block ×3, first 2 shown]
	v_add_f32_e32 v76, v39, v81
	v_add_f32_e32 v82, v71, v69
	v_fmac_f32_e32 v77, 0x3ee1c552, v42
	v_fmac_f32_e32 v78, 0x3ee1c552, v36
	v_add_f32_e32 v61, v70, v81
	v_add_f32_e32 v62, v72, v69
	;; [unrolled: 1-line block ×4, first 2 shown]
	v_fmac_f32_e32 v73, 0x3ee1c552, v42
	v_fmac_f32_e32 v75, 0x3ee1c552, v36
	;; [unrolled: 1-line block ×4, first 2 shown]
	v_add_f32_e32 v36, v78, v76
	v_sub_f32_e32 v37, v82, v77
	v_add_f32_e32 v38, v80, v70
	v_sub_f32_e32 v39, v71, v79
	v_sub_f32_e32 v42, v61, v75
	v_add_f32_e32 v43, v73, v62
	v_add_f32_e32 v61, v75, v61
	v_sub_f32_e32 v62, v62, v73
	v_sub_f32_e32 v69, v70, v80
	v_add_f32_e32 v70, v79, v71
	v_sub_f32_e32 v71, v76, v78
	v_add_f32_e32 v72, v77, v82
	ds_write2_b64 v63, v[34:35], v[36:37] offset1:35
	ds_write2_b64 v63, v[38:39], v[42:43] offset0:70 offset1:105
	ds_write2_b64 v63, v[61:62], v[69:70] offset0:140 offset1:175
	ds_write_b64 v63, v[71:72] offset:1680
	s_waitcnt lgkmcnt(0)
	s_barrier
	global_load_dwordx2 v[32:33], v[32:33], off offset:1960
	ds_read2_b64 v[34:37], v63 offset1:35
	s_waitcnt vmcnt(0) lgkmcnt(0)
	v_mul_f32_e32 v38, v35, v33
	v_mul_f32_e32 v39, v34, v33
	v_fma_f32 v38, v34, v32, -v38
	v_fmac_f32_e32 v39, v35, v32
	global_load_dwordx2 v[32:33], v40, s[6:7] offset:280
	s_waitcnt vmcnt(0)
	v_mul_f32_e32 v34, v37, v33
	v_mul_f32_e32 v35, v36, v33
	v_fma_f32 v34, v36, v32, -v34
	v_fmac_f32_e32 v35, v37, v32
	global_load_dwordx2 v[36:37], v40, s[6:7] offset:560
	ds_write2_b64 v63, v[38:39], v[34:35] offset1:35
	ds_read2_b64 v[32:35], v63 offset0:70 offset1:105
	s_waitcnt vmcnt(0) lgkmcnt(0)
	v_mul_f32_e32 v38, v33, v37
	v_mul_f32_e32 v39, v32, v37
	v_fma_f32 v38, v32, v36, -v38
	v_fmac_f32_e32 v39, v33, v36
	global_load_dwordx2 v[32:33], v40, s[6:7] offset:840
	s_waitcnt vmcnt(0)
	v_mul_f32_e32 v36, v35, v33
	v_mul_f32_e32 v37, v34, v33
	v_fma_f32 v36, v34, v32, -v36
	v_fmac_f32_e32 v37, v35, v32
	ds_write2_b64 v63, v[38:39], v[36:37] offset0:70 offset1:105
	global_load_dwordx2 v[36:37], v40, s[6:7] offset:1120
	ds_read2_b64 v[32:35], v63 offset0:140 offset1:175
	s_waitcnt vmcnt(0) lgkmcnt(0)
	v_mul_f32_e32 v38, v33, v37
	v_mul_f32_e32 v39, v32, v37
	v_fma_f32 v38, v32, v36, -v38
	v_fmac_f32_e32 v39, v33, v36
	global_load_dwordx2 v[32:33], v40, s[6:7] offset:1400
	s_waitcnt vmcnt(0)
	v_mul_f32_e32 v36, v35, v33
	v_mul_f32_e32 v37, v34, v33
	v_fma_f32 v36, v34, v32, -v36
	v_fmac_f32_e32 v37, v35, v32
	global_load_dwordx2 v[34:35], v40, s[6:7] offset:1680
	ds_read_b64 v[32:33], v63 offset:1680
	ds_write2_b64 v63, v[38:39], v[36:37] offset0:140 offset1:175
	s_waitcnt vmcnt(0) lgkmcnt(1)
	v_mul_f32_e32 v36, v33, v35
	v_mul_f32_e32 v37, v32, v35
	v_fma_f32 v36, v32, v34, -v36
	v_fmac_f32_e32 v37, v33, v34
	ds_write_b64 v63, v[36:37] offset:1680
	s_waitcnt lgkmcnt(0)
	s_barrier
	ds_read2_b64 v[32:35], v63 offset1:35
	ds_read2_b64 v[36:39], v63 offset0:70 offset1:105
	ds_read2_b64 v[69:72], v63 offset0:140 offset1:175
	ds_read_b64 v[42:43], v63 offset:1680
	s_waitcnt lgkmcnt(0)
	s_barrier
	v_add_f32_e32 v62, v38, v69
	v_add_f32_e32 v40, v34, v42
	v_sub_f32_e32 v34, v34, v42
	v_add_f32_e32 v42, v36, v71
	v_add_f32_e32 v61, v35, v43
	v_sub_f32_e32 v35, v35, v43
	v_add_f32_e32 v43, v37, v72
	v_sub_f32_e32 v38, v69, v38
	;; [unrolled: 2-line block ×3, first 2 shown]
	v_sub_f32_e32 v37, v37, v72
	v_add_f32_e32 v71, v39, v70
	v_sub_f32_e32 v39, v70, v39
	v_add_f32_e32 v70, v43, v61
	v_sub_f32_e32 v72, v42, v40
	v_sub_f32_e32 v40, v40, v62
	;; [unrolled: 1-line block ×3, first 2 shown]
	v_add_f32_e32 v62, v62, v69
	v_add_f32_e32 v74, v38, v36
	v_sub_f32_e32 v76, v38, v36
	v_sub_f32_e32 v78, v36, v34
	v_add_f32_e32 v69, v71, v70
	v_add_f32_e32 v36, v32, v62
	v_sub_f32_e32 v73, v43, v61
	v_sub_f32_e32 v61, v61, v71
	;; [unrolled: 1-line block ×3, first 2 shown]
	v_add_f32_e32 v75, v39, v37
	v_sub_f32_e32 v77, v39, v37
	v_sub_f32_e32 v79, v37, v35
	v_add_f32_e32 v37, v33, v69
	v_mov_b32_e32 v70, v36
	v_sub_f32_e32 v38, v34, v38
	v_sub_f32_e32 v39, v35, v39
	v_add_f32_e32 v34, v74, v34
	v_add_f32_e32 v35, v75, v35
	v_mul_f32_e32 v32, 0x3f4a47b2, v40
	v_mul_f32_e32 v33, 0x3f4a47b2, v61
	;; [unrolled: 1-line block ×8, first 2 shown]
	v_fmac_f32_e32 v70, 0xbf955555, v62
	v_mov_b32_e32 v62, v37
	v_fmac_f32_e32 v62, 0xbf955555, v69
	v_fma_f32 v40, v72, s9, -v40
	v_fma_f32 v61, v73, s9, -v61
	;; [unrolled: 1-line block ×3, first 2 shown]
	v_fmac_f32_e32 v32, 0x3d64c772, v42
	v_fma_f32 v42, v73, s10, -v33
	v_fmac_f32_e32 v33, 0x3d64c772, v43
	v_fma_f32 v72, v78, s8, -v71
	;; [unrolled: 2-line block ×3, first 2 shown]
	v_fmac_f32_e32 v74, 0xbeae86e6, v39
	v_fmac_f32_e32 v75, 0x3eae86e6, v38
	;; [unrolled: 1-line block ×3, first 2 shown]
	v_add_f32_e32 v77, v32, v70
	v_add_f32_e32 v78, v33, v62
	;; [unrolled: 1-line block ×6, first 2 shown]
	v_fmac_f32_e32 v71, 0xbee1c552, v34
	v_fmac_f32_e32 v74, 0xbee1c552, v35
	;; [unrolled: 1-line block ×6, first 2 shown]
	v_add_f32_e32 v38, v77, v74
	v_sub_f32_e32 v39, v78, v71
	v_add_f32_e32 v42, v76, v40
	v_sub_f32_e32 v43, v79, v75
	v_sub_f32_e32 v61, v32, v73
	v_add_f32_e32 v62, v72, v33
	v_add_f32_e32 v69, v73, v32
	v_sub_f32_e32 v70, v33, v72
	v_sub_f32_e32 v32, v40, v76
	v_add_f32_e32 v33, v75, v79
	v_sub_f32_e32 v34, v77, v74
	v_add_f32_e32 v35, v71, v78
	ds_write2_b64 v41, v[36:37], v[38:39] offset1:1
	ds_write2_b64 v41, v[42:43], v[61:62] offset0:2 offset1:3
	ds_write2_b64 v41, v[69:70], v[32:33] offset0:4 offset1:5
	ds_write_b64 v41, v[34:35] offset:48
	s_waitcnt lgkmcnt(0)
	s_barrier
	ds_read2_b64 v[36:39], v63 offset1:49
	ds_read2_b64 v[40:43], v63 offset0:98 offset1:147
	ds_read_b64 v[61:62], v63 offset:1568
	s_and_saveexec_b64 s[6:7], vcc
	s_cbranch_execz .LBB0_7
; %bb.6:
	ds_read2_b64 v[32:35], v63 offset0:35 offset1:84
	ds_read2_b64 v[20:23], v63 offset0:133 offset1:182
	ds_read_b64 v[59:60], v63 offset:1848
.LBB0_7:
	s_or_b64 exec, exec, s[6:7]
	s_waitcnt lgkmcnt(2)
	v_mul_f32_e32 v69, v13, v39
	v_mul_f32_e32 v13, v13, v38
	v_fmac_f32_e32 v69, v12, v38
	v_fma_f32 v38, v12, v39, -v13
	s_waitcnt lgkmcnt(1)
	v_mul_f32_e32 v39, v15, v41
	v_mul_f32_e32 v12, v15, v40
	;; [unrolled: 1-line block ×3, first 2 shown]
	v_fmac_f32_e32 v39, v14, v40
	v_fmac_f32_e32 v15, v8, v42
	v_mul_f32_e32 v9, v9, v42
	v_fma_f32 v40, v14, v41, -v12
	v_fma_f32 v41, v8, v43, -v9
	s_waitcnt lgkmcnt(0)
	v_mul_f32_e32 v13, v11, v62
	v_mul_f32_e32 v8, v11, v61
	v_add_f32_e32 v9, v39, v15
	v_fmac_f32_e32 v13, v10, v61
	v_fma_f32 v42, v10, v62, -v8
	v_fma_f32 v10, -0.5, v9, v36
	v_sub_f32_e32 v9, v38, v42
	v_mov_b32_e32 v12, v10
	v_fmac_f32_e32 v12, 0xbf737871, v9
	v_sub_f32_e32 v11, v40, v41
	v_sub_f32_e32 v14, v69, v39
	;; [unrolled: 1-line block ×3, first 2 shown]
	v_fmac_f32_e32 v10, 0x3f737871, v9
	v_fmac_f32_e32 v12, 0xbf167918, v11
	v_add_f32_e32 v14, v14, v43
	v_fmac_f32_e32 v10, 0x3f167918, v11
	v_fmac_f32_e32 v12, 0x3e9e377a, v14
	;; [unrolled: 1-line block ×3, first 2 shown]
	v_add_f32_e32 v14, v69, v13
	v_fma_f32 v14, -0.5, v14, v36
	v_add_f32_e32 v8, v36, v69
	v_mov_b32_e32 v36, v14
	v_add_f32_e32 v8, v8, v39
	v_fmac_f32_e32 v36, 0x3f737871, v11
	v_sub_f32_e32 v43, v39, v69
	v_sub_f32_e32 v61, v15, v13
	v_fmac_f32_e32 v14, 0xbf737871, v11
	v_add_f32_e32 v11, v40, v41
	v_add_f32_e32 v8, v8, v15
	v_fmac_f32_e32 v36, 0xbf167918, v9
	v_add_f32_e32 v43, v43, v61
	v_fmac_f32_e32 v14, 0x3f167918, v9
	v_fma_f32 v11, -0.5, v11, v37
	v_add_f32_e32 v8, v8, v13
	v_fmac_f32_e32 v36, 0x3e9e377a, v43
	v_fmac_f32_e32 v14, 0x3e9e377a, v43
	v_sub_f32_e32 v43, v69, v13
	v_mov_b32_e32 v13, v11
	v_fmac_f32_e32 v13, 0x3f737871, v43
	v_sub_f32_e32 v39, v39, v15
	v_sub_f32_e32 v15, v38, v40
	;; [unrolled: 1-line block ×3, first 2 shown]
	v_fmac_f32_e32 v11, 0xbf737871, v43
	v_fmac_f32_e32 v13, 0x3f167918, v39
	v_add_f32_e32 v15, v15, v61
	v_fmac_f32_e32 v11, 0xbf167918, v39
	v_fmac_f32_e32 v13, 0x3e9e377a, v15
	;; [unrolled: 1-line block ×3, first 2 shown]
	v_add_f32_e32 v15, v38, v42
	v_add_f32_e32 v9, v37, v38
	v_fma_f32 v15, -0.5, v15, v37
	v_add_f32_e32 v9, v9, v40
	v_mov_b32_e32 v37, v15
	v_add_f32_e32 v9, v9, v41
	v_fmac_f32_e32 v37, 0xbf737871, v39
	v_sub_f32_e32 v38, v40, v38
	v_sub_f32_e32 v40, v41, v42
	v_fmac_f32_e32 v15, 0x3f737871, v39
	v_add_f32_e32 v9, v9, v42
	v_fmac_f32_e32 v37, 0x3f167918, v43
	v_add_f32_e32 v38, v38, v40
	v_fmac_f32_e32 v15, 0xbf167918, v43
	v_fmac_f32_e32 v37, 0x3e9e377a, v38
	;; [unrolled: 1-line block ×3, first 2 shown]
	s_barrier
	ds_write2_b64 v68, v[8:9], v[12:13] offset1:7
	ds_write2_b64 v68, v[36:37], v[14:15] offset0:14 offset1:21
	ds_write_b64 v68, v[10:11] offset:224
	s_and_saveexec_b64 s[6:7], vcc
	s_cbranch_execz .LBB0_9
; %bb.8:
	v_mul_f32_e32 v8, v7, v20
	v_mul_f32_e32 v10, v1, v22
	v_fma_f32 v9, v6, v21, -v8
	v_mul_f32_e32 v8, v5, v34
	v_fma_f32 v12, v0, v23, -v10
	;; [unrolled: 2-line block ×3, first 2 shown]
	v_fma_f32 v13, v2, v60, -v10
	v_mul_f32_e32 v14, v7, v21
	v_fmac_f32_e32 v14, v6, v20
	v_mul_f32_e32 v15, v1, v23
	v_add_f32_e32 v1, v11, v13
	v_mul_f32_e32 v20, v5, v35
	v_fmac_f32_e32 v15, v0, v22
	v_fma_f32 v1, -0.5, v1, v33
	v_fmac_f32_e32 v20, v4, v34
	v_mul_f32_e32 v4, v3, v60
	v_sub_f32_e32 v0, v14, v15
	v_mov_b32_e32 v6, v1
	v_fmac_f32_e32 v4, v2, v59
	v_sub_f32_e32 v3, v11, v9
	v_sub_f32_e32 v5, v13, v12
	;; [unrolled: 1-line block ×4, first 2 shown]
	v_fmac_f32_e32 v6, 0x3f737871, v0
	v_sub_f32_e32 v2, v20, v4
	v_fmac_f32_e32 v1, 0xbf737871, v0
	v_add_f32_e32 v5, v3, v5
	v_add_f32_e32 v3, v9, v12
	;; [unrolled: 1-line block ×3, first 2 shown]
	v_fmac_f32_e32 v6, 0xbf167918, v2
	v_fmac_f32_e32 v1, 0x3f167918, v2
	v_fma_f32 v3, -0.5, v3, v33
	v_fmac_f32_e32 v6, 0x3e9e377a, v8
	v_fmac_f32_e32 v1, 0x3e9e377a, v8
	v_mov_b32_e32 v8, v3
	v_fmac_f32_e32 v8, 0xbf737871, v2
	v_fmac_f32_e32 v3, 0x3f737871, v2
	;; [unrolled: 1-line block ×4, first 2 shown]
	v_add_f32_e32 v0, v33, v11
	v_add_f32_e32 v0, v0, v9
	;; [unrolled: 1-line block ×4, first 2 shown]
	v_sub_f32_e32 v0, v14, v20
	v_sub_f32_e32 v2, v15, v4
	v_add_f32_e32 v2, v0, v2
	v_add_f32_e32 v0, v20, v4
	v_fma_f32 v0, -0.5, v0, v32
	v_fmac_f32_e32 v8, 0x3e9e377a, v5
	v_fmac_f32_e32 v3, 0x3e9e377a, v5
	v_sub_f32_e32 v9, v9, v12
	v_mov_b32_e32 v5, v0
	v_sub_f32_e32 v11, v11, v13
	v_fmac_f32_e32 v5, 0xbf737871, v9
	v_fmac_f32_e32 v0, 0x3f737871, v9
	;; [unrolled: 1-line block ×6, first 2 shown]
	v_sub_f32_e32 v2, v20, v14
	v_sub_f32_e32 v7, v4, v15
	v_add_f32_e32 v12, v2, v7
	v_add_f32_e32 v2, v14, v15
	v_fma_f32 v2, -0.5, v2, v32
	v_mov_b32_e32 v7, v2
	v_fmac_f32_e32 v7, 0x3f737871, v11
	v_fmac_f32_e32 v2, 0xbf737871, v11
	;; [unrolled: 1-line block ×4, first 2 shown]
	v_add_f32_e32 v9, v32, v20
	v_add_f32_e32 v9, v9, v14
	;; [unrolled: 1-line block ×4, first 2 shown]
	v_mul_u32_u24_e32 v4, 35, v66
	v_add_u32_sdwa v4, v4, v67 dst_sel:DWORD dst_unused:UNUSED_PAD src0_sel:DWORD src1_sel:BYTE_0
	v_fmac_f32_e32 v2, 0x3e9e377a, v12
	v_lshl_add_u32 v4, v4, 3, v65
	v_fmac_f32_e32 v7, 0x3e9e377a, v12
	ds_write2_b64 v4, v[9:10], v[2:3] offset1:7
	ds_write2_b64 v4, v[0:1], v[5:6] offset0:14 offset1:21
	ds_write_b64 v4, v[7:8] offset:224
.LBB0_9:
	s_or_b64 exec, exec, s[6:7]
	s_waitcnt lgkmcnt(0)
	s_barrier
	ds_read2_b64 v[0:3], v63 offset1:35
	ds_read2_b64 v[4:7], v63 offset0:70 offset1:105
	ds_read2_b64 v[8:11], v63 offset0:140 offset1:175
	ds_read_b64 v[14:15], v63 offset:1680
	v_mad_u64_u32 v[12:13], s[6:7], s2, v46, 0
	s_mov_b32 s6, 0x3f3bfb3b
	s_waitcnt lgkmcnt(3)
	v_mul_f32_e32 v20, v29, v3
	v_fmac_f32_e32 v20, v28, v2
	v_mul_f32_e32 v2, v29, v2
	v_fma_f32 v2, v28, v3, -v2
	s_waitcnt lgkmcnt(2)
	v_mul_f32_e32 v3, v31, v5
	v_fmac_f32_e32 v3, v30, v4
	v_mul_f32_e32 v4, v31, v4
	v_fma_f32 v4, v30, v5, -v4
	v_mul_f32_e32 v5, v25, v7
	v_fmac_f32_e32 v5, v24, v6
	v_mul_f32_e32 v6, v25, v6
	v_fma_f32 v6, v24, v7, -v6
	s_waitcnt lgkmcnt(1)
	v_mul_f32_e32 v7, v27, v9
	v_fmac_f32_e32 v7, v26, v8
	v_mul_f32_e32 v8, v27, v8
	v_fma_f32 v8, v26, v9, -v8
	v_mul_f32_e32 v9, v17, v11
	v_fmac_f32_e32 v9, v16, v10
	v_mul_f32_e32 v10, v17, v10
	v_fma_f32 v10, v16, v11, -v10
	s_waitcnt lgkmcnt(0)
	v_mul_f32_e32 v11, v19, v15
	v_fmac_f32_e32 v11, v18, v14
	v_mul_f32_e32 v14, v19, v14
	v_fma_f32 v14, v18, v15, -v14
	v_add_f32_e32 v15, v20, v11
	v_add_f32_e32 v16, v2, v14
	v_sub_f32_e32 v2, v2, v14
	v_add_f32_e32 v14, v3, v9
	v_add_f32_e32 v17, v4, v10
	v_sub_f32_e32 v3, v3, v9
	v_add_f32_e32 v9, v5, v7
	v_sub_f32_e32 v5, v7, v5
	;; [unrolled: 2-line block ×4, first 2 shown]
	v_add_f32_e32 v8, v17, v16
	v_add_f32_e32 v7, v9, v7
	;; [unrolled: 1-line block ×4, first 2 shown]
	v_sub_f32_e32 v11, v20, v11
	v_sub_f32_e32 v18, v14, v15
	;; [unrolled: 1-line block ×7, first 2 shown]
	v_add_f32_e32 v20, v5, v3
	v_add_f32_e32 v1, v1, v8
	v_mov_b32_e32 v24, v0
	v_add_f32_e32 v21, v6, v4
	v_sub_f32_e32 v22, v5, v3
	v_sub_f32_e32 v23, v6, v4
	;; [unrolled: 1-line block ×4, first 2 shown]
	v_add_f32_e32 v9, v20, v11
	v_mul_f32_e32 v10, 0x3f4a47b2, v15
	v_mul_f32_e32 v11, 0x3f4a47b2, v16
	v_mul_f32_e32 v15, 0x3d64c772, v14
	v_mul_f32_e32 v16, 0x3d64c772, v17
	v_fmac_f32_e32 v24, 0xbf955555, v7
	v_mov_b32_e32 v7, v1
	v_sub_f32_e32 v6, v2, v6
	v_sub_f32_e32 v4, v4, v2
	v_add_f32_e32 v2, v21, v2
	v_mul_f32_e32 v20, 0x3f08b237, v22
	v_mul_f32_e32 v21, 0x3f08b237, v23
	s_mov_b32 s2, 0xbf5ff5aa
	v_fmac_f32_e32 v7, 0xbf955555, v8
	v_fma_f32 v8, v18, s6, -v15
	v_fma_f32 v15, v19, s6, -v16
	s_mov_b32 s6, 0xbf3bfb3b
	v_mul_f32_e32 v22, 0xbf5ff5aa, v3
	v_mul_f32_e32 v23, 0xbf5ff5aa, v4
	v_fma_f32 v16, v18, s6, -v10
	v_fmac_f32_e32 v10, 0x3d64c772, v14
	v_fma_f32 v14, v19, s6, -v11
	v_fmac_f32_e32 v11, 0x3d64c772, v17
	v_fma_f32 v17, v3, s2, -v20
	v_fmac_f32_e32 v20, 0xbeae86e6, v5
	v_fma_f32 v18, v4, s2, -v21
	v_fmac_f32_e32 v21, 0xbeae86e6, v6
	s_mov_b32 s2, 0x3eae86e6
	v_fma_f32 v19, v5, s2, -v22
	v_fma_f32 v22, v6, s2, -v23
	v_add_f32_e32 v23, v10, v24
	v_add_f32_e32 v25, v11, v7
	v_fmac_f32_e32 v20, 0xbee1c552, v9
	v_fmac_f32_e32 v21, 0xbee1c552, v2
	v_add_f32_e32 v8, v8, v24
	v_add_f32_e32 v10, v15, v7
	;; [unrolled: 1-line block ×4, first 2 shown]
	v_fmac_f32_e32 v17, 0xbee1c552, v9
	v_fmac_f32_e32 v18, 0xbee1c552, v2
	v_fmac_f32_e32 v19, 0xbee1c552, v9
	v_fmac_f32_e32 v22, 0xbee1c552, v2
	v_add_f32_e32 v2, v21, v23
	v_sub_f32_e32 v3, v25, v20
	v_add_f32_e32 v4, v22, v11
	v_sub_f32_e32 v5, v14, v19
	v_sub_f32_e32 v6, v8, v18
	v_add_f32_e32 v7, v17, v10
	v_add_f32_e32 v8, v18, v8
	v_sub_f32_e32 v9, v10, v17
	v_sub_f32_e32 v10, v11, v22
	v_add_f32_e32 v11, v19, v14
	v_sub_f32_e32 v14, v23, v21
	v_add_f32_e32 v15, v20, v25
	ds_write2_b64 v63, v[0:1], v[2:3] offset1:35
	ds_write2_b64 v63, v[4:5], v[6:7] offset0:70 offset1:105
	ds_write2_b64 v63, v[8:9], v[10:11] offset0:140 offset1:175
	ds_write_b64 v63, v[14:15] offset:1680
	s_waitcnt lgkmcnt(0)
	s_barrier
	ds_read2_b64 v[0:3], v63 offset1:35
	s_mov_b32 s6, 0xec259dc8
	s_mov_b32 s7, 0x3f70b7e6
	v_mad_u64_u32 v[7:8], s[8:9], s0, v64, 0
	s_waitcnt lgkmcnt(0)
	v_mul_f32_e32 v5, v56, v1
	v_fmac_f32_e32 v5, v55, v0
	v_cvt_f64_f32_e32 v[5:6], v5
	v_mul_f32_e32 v0, v56, v0
	v_fma_f32 v0, v55, v1, -v0
	v_cvt_f64_f32_e32 v[0:1], v0
	v_mul_f64 v[5:6], v[5:6], s[6:7]
	v_mov_b32_e32 v4, v13
	v_mul_f64 v[0:1], v[0:1], s[6:7]
	v_mad_u64_u32 v[9:10], s[2:3], s3, v46, v[4:5]
	v_mov_b32_e32 v4, v8
	v_mad_u64_u32 v[10:11], s[2:3], s1, v64, v[4:5]
	v_mov_b32_e32 v13, v9
	v_mul_f32_e32 v9, v58, v3
	v_fmac_f32_e32 v9, v57, v2
	v_mov_b32_e32 v8, v10
	v_cvt_f64_f32_e32 v[9:10], v9
	v_cvt_f32_f64_e32 v4, v[5:6]
	v_cvt_f32_f64_e32 v5, v[0:1]
	v_lshlrev_b64 v[0:1], 3, v[12:13]
	v_mul_f32_e32 v2, v58, v2
	v_fma_f32 v2, v57, v3, -v2
	v_mov_b32_e32 v6, s5
	v_cvt_f64_f32_e32 v[2:3], v2
	v_add_co_u32_e32 v11, vcc, s4, v0
	v_addc_co_u32_e32 v12, vcc, v6, v1, vcc
	v_lshlrev_b64 v[0:1], 3, v[7:8]
	v_mul_f64 v[6:7], v[9:10], s[6:7]
	v_add_co_u32_e32 v10, vcc, v11, v0
	v_mul_f64 v[8:9], v[2:3], s[6:7]
	v_addc_co_u32_e32 v11, vcc, v12, v1, vcc
	ds_read2_b64 v[0:3], v63 offset0:70 offset1:105
	global_store_dwordx2 v[10:11], v[4:5], off
	v_cvt_f32_f64_e32 v4, v[6:7]
	s_mulk_i32 s1, 0x118
	s_mul_hi_u32 s2, s0, 0x118
	s_waitcnt lgkmcnt(0)
	v_mul_f32_e32 v6, v54, v1
	v_fmac_f32_e32 v6, v53, v0
	v_mul_f32_e32 v0, v54, v0
	v_fma_f32 v0, v53, v1, -v0
	v_cvt_f64_f32_e32 v[0:1], v0
	v_cvt_f64_f32_e32 v[6:7], v6
	v_cvt_f32_f64_e32 v5, v[8:9]
	s_add_i32 s1, s2, s1
	v_mul_f64 v[0:1], v[0:1], s[6:7]
	v_mul_f64 v[6:7], v[6:7], s[6:7]
	s_mulk_i32 s0, 0x118
	v_mov_b32_e32 v9, s1
	v_add_co_u32_e32 v8, vcc, s0, v10
	v_addc_co_u32_e32 v9, vcc, v11, v9, vcc
	global_store_dwordx2 v[8:9], v[4:5], off
	v_cvt_f32_f64_e32 v5, v[0:1]
	v_mul_f32_e32 v0, v52, v3
	v_fmac_f32_e32 v0, v51, v2
	v_cvt_f32_f64_e32 v4, v[6:7]
	v_cvt_f64_f32_e32 v[6:7], v0
	v_mul_f32_e32 v0, v52, v2
	v_fma_f32 v0, v51, v3, -v0
	v_cvt_f64_f32_e32 v[10:11], v0
	ds_read2_b64 v[0:3], v63 offset0:140 offset1:175
	v_mov_b32_e32 v12, s1
	v_add_co_u32_e32 v8, vcc, s0, v8
	v_addc_co_u32_e32 v9, vcc, v9, v12, vcc
	global_store_dwordx2 v[8:9], v[4:5], off
	v_mul_f64 v[4:5], v[6:7], s[6:7]
	v_mul_f64 v[6:7], v[10:11], s[6:7]
	s_waitcnt lgkmcnt(0)
	v_mul_f32_e32 v10, v50, v1
	v_fmac_f32_e32 v10, v49, v0
	v_mul_f32_e32 v0, v50, v0
	v_fma_f32 v0, v49, v1, -v0
	v_cvt_f64_f32_e32 v[0:1], v0
	v_cvt_f64_f32_e32 v[10:11], v10
	v_cvt_f32_f64_e32 v4, v[4:5]
	v_cvt_f32_f64_e32 v5, v[6:7]
	v_mul_f64 v[0:1], v[0:1], s[6:7]
	v_mul_f64 v[6:7], v[10:11], s[6:7]
	v_mov_b32_e32 v10, s1
	v_add_co_u32_e32 v8, vcc, s0, v8
	v_addc_co_u32_e32 v9, vcc, v9, v10, vcc
	global_store_dwordx2 v[8:9], v[4:5], off
	v_cvt_f32_f64_e32 v5, v[0:1]
	v_mul_f32_e32 v0, v48, v3
	v_fmac_f32_e32 v0, v47, v2
	v_mul_f32_e32 v2, v48, v2
	v_fma_f32 v2, v47, v3, -v2
	v_cvt_f32_f64_e32 v4, v[6:7]
	v_cvt_f64_f32_e32 v[0:1], v0
	v_cvt_f64_f32_e32 v[2:3], v2
	ds_read_b64 v[6:7], v63 offset:1680
	v_add_co_u32_e32 v8, vcc, s0, v8
	v_addc_co_u32_e32 v9, vcc, v9, v10, vcc
	v_mul_f64 v[0:1], v[0:1], s[6:7]
	v_mul_f64 v[2:3], v[2:3], s[6:7]
	global_store_dwordx2 v[8:9], v[4:5], off
	s_waitcnt lgkmcnt(0)
	v_mul_f32_e32 v4, v45, v7
	v_fmac_f32_e32 v4, v44, v6
	v_mul_f32_e32 v6, v45, v6
	v_fma_f32 v6, v44, v7, -v6
	v_cvt_f64_f32_e32 v[4:5], v4
	v_cvt_f64_f32_e32 v[6:7], v6
	v_cvt_f32_f64_e32 v0, v[0:1]
	v_cvt_f32_f64_e32 v1, v[2:3]
	v_mul_f64 v[2:3], v[4:5], s[6:7]
	v_mul_f64 v[4:5], v[6:7], s[6:7]
	v_mov_b32_e32 v7, s1
	v_add_co_u32_e32 v6, vcc, s0, v8
	v_addc_co_u32_e32 v7, vcc, v9, v7, vcc
	global_store_dwordx2 v[6:7], v[0:1], off
	v_cvt_f32_f64_e32 v0, v[2:3]
	v_cvt_f32_f64_e32 v1, v[4:5]
	v_mov_b32_e32 v3, s1
	v_add_co_u32_e32 v2, vcc, s0, v6
	v_addc_co_u32_e32 v3, vcc, v7, v3, vcc
	global_store_dwordx2 v[2:3], v[0:1], off
.LBB0_10:
	s_endpgm
	.section	.rodata,"a",@progbits
	.p2align	6, 0x0
	.amdhsa_kernel bluestein_single_back_len245_dim1_sp_op_CI_CI
		.amdhsa_group_segment_fixed_size 13720
		.amdhsa_private_segment_fixed_size 0
		.amdhsa_kernarg_size 104
		.amdhsa_user_sgpr_count 6
		.amdhsa_user_sgpr_private_segment_buffer 1
		.amdhsa_user_sgpr_dispatch_ptr 0
		.amdhsa_user_sgpr_queue_ptr 0
		.amdhsa_user_sgpr_kernarg_segment_ptr 1
		.amdhsa_user_sgpr_dispatch_id 0
		.amdhsa_user_sgpr_flat_scratch_init 0
		.amdhsa_user_sgpr_private_segment_size 0
		.amdhsa_uses_dynamic_stack 0
		.amdhsa_system_sgpr_private_segment_wavefront_offset 0
		.amdhsa_system_sgpr_workgroup_id_x 1
		.amdhsa_system_sgpr_workgroup_id_y 0
		.amdhsa_system_sgpr_workgroup_id_z 0
		.amdhsa_system_sgpr_workgroup_info 0
		.amdhsa_system_vgpr_workitem_id 0
		.amdhsa_next_free_vgpr 83
		.amdhsa_next_free_sgpr 20
		.amdhsa_reserve_vcc 1
		.amdhsa_reserve_flat_scratch 0
		.amdhsa_float_round_mode_32 0
		.amdhsa_float_round_mode_16_64 0
		.amdhsa_float_denorm_mode_32 3
		.amdhsa_float_denorm_mode_16_64 3
		.amdhsa_dx10_clamp 1
		.amdhsa_ieee_mode 1
		.amdhsa_fp16_overflow 0
		.amdhsa_exception_fp_ieee_invalid_op 0
		.amdhsa_exception_fp_denorm_src 0
		.amdhsa_exception_fp_ieee_div_zero 0
		.amdhsa_exception_fp_ieee_overflow 0
		.amdhsa_exception_fp_ieee_underflow 0
		.amdhsa_exception_fp_ieee_inexact 0
		.amdhsa_exception_int_div_zero 0
	.end_amdhsa_kernel
	.text
.Lfunc_end0:
	.size	bluestein_single_back_len245_dim1_sp_op_CI_CI, .Lfunc_end0-bluestein_single_back_len245_dim1_sp_op_CI_CI
                                        ; -- End function
	.section	.AMDGPU.csdata,"",@progbits
; Kernel info:
; codeLenInByte = 6384
; NumSgprs: 24
; NumVgprs: 83
; ScratchSize: 0
; MemoryBound: 0
; FloatMode: 240
; IeeeMode: 1
; LDSByteSize: 13720 bytes/workgroup (compile time only)
; SGPRBlocks: 2
; VGPRBlocks: 20
; NumSGPRsForWavesPerEU: 24
; NumVGPRsForWavesPerEU: 83
; Occupancy: 3
; WaveLimiterHint : 1
; COMPUTE_PGM_RSRC2:SCRATCH_EN: 0
; COMPUTE_PGM_RSRC2:USER_SGPR: 6
; COMPUTE_PGM_RSRC2:TRAP_HANDLER: 0
; COMPUTE_PGM_RSRC2:TGID_X_EN: 1
; COMPUTE_PGM_RSRC2:TGID_Y_EN: 0
; COMPUTE_PGM_RSRC2:TGID_Z_EN: 0
; COMPUTE_PGM_RSRC2:TIDIG_COMP_CNT: 0
	.type	__hip_cuid_430b58db983aba6a,@object ; @__hip_cuid_430b58db983aba6a
	.section	.bss,"aw",@nobits
	.globl	__hip_cuid_430b58db983aba6a
__hip_cuid_430b58db983aba6a:
	.byte	0                               ; 0x0
	.size	__hip_cuid_430b58db983aba6a, 1

	.ident	"AMD clang version 19.0.0git (https://github.com/RadeonOpenCompute/llvm-project roc-6.4.0 25133 c7fe45cf4b819c5991fe208aaa96edf142730f1d)"
	.section	".note.GNU-stack","",@progbits
	.addrsig
	.addrsig_sym __hip_cuid_430b58db983aba6a
	.amdgpu_metadata
---
amdhsa.kernels:
  - .args:
      - .actual_access:  read_only
        .address_space:  global
        .offset:         0
        .size:           8
        .value_kind:     global_buffer
      - .actual_access:  read_only
        .address_space:  global
        .offset:         8
        .size:           8
        .value_kind:     global_buffer
      - .actual_access:  read_only
        .address_space:  global
        .offset:         16
        .size:           8
        .value_kind:     global_buffer
      - .actual_access:  read_only
        .address_space:  global
        .offset:         24
        .size:           8
        .value_kind:     global_buffer
      - .actual_access:  read_only
        .address_space:  global
        .offset:         32
        .size:           8
        .value_kind:     global_buffer
      - .offset:         40
        .size:           8
        .value_kind:     by_value
      - .address_space:  global
        .offset:         48
        .size:           8
        .value_kind:     global_buffer
      - .address_space:  global
        .offset:         56
        .size:           8
        .value_kind:     global_buffer
      - .address_space:  global
        .offset:         64
        .size:           8
        .value_kind:     global_buffer
      - .address_space:  global
        .offset:         72
        .size:           8
        .value_kind:     global_buffer
      - .offset:         80
        .size:           4
        .value_kind:     by_value
      - .address_space:  global
        .offset:         88
        .size:           8
        .value_kind:     global_buffer
      - .address_space:  global
        .offset:         96
        .size:           8
        .value_kind:     global_buffer
    .group_segment_fixed_size: 13720
    .kernarg_segment_align: 8
    .kernarg_segment_size: 104
    .language:       OpenCL C
    .language_version:
      - 2
      - 0
    .max_flat_workgroup_size: 245
    .name:           bluestein_single_back_len245_dim1_sp_op_CI_CI
    .private_segment_fixed_size: 0
    .sgpr_count:     24
    .sgpr_spill_count: 0
    .symbol:         bluestein_single_back_len245_dim1_sp_op_CI_CI.kd
    .uniform_work_group_size: 1
    .uses_dynamic_stack: false
    .vgpr_count:     83
    .vgpr_spill_count: 0
    .wavefront_size: 64
amdhsa.target:   amdgcn-amd-amdhsa--gfx906
amdhsa.version:
  - 1
  - 2
...

	.end_amdgpu_metadata
